;; amdgpu-corpus repo=ROCm/rocFFT kind=compiled arch=gfx906 opt=O3
	.text
	.amdgcn_target "amdgcn-amd-amdhsa--gfx906"
	.amdhsa_code_object_version 6
	.protected	fft_rtc_back_len135_factors_5_3_3_3_wgs_126_tpt_9_halfLds_half_ip_CI_unitstride_sbrr_dirReg ; -- Begin function fft_rtc_back_len135_factors_5_3_3_3_wgs_126_tpt_9_halfLds_half_ip_CI_unitstride_sbrr_dirReg
	.globl	fft_rtc_back_len135_factors_5_3_3_3_wgs_126_tpt_9_halfLds_half_ip_CI_unitstride_sbrr_dirReg
	.p2align	8
	.type	fft_rtc_back_len135_factors_5_3_3_3_wgs_126_tpt_9_halfLds_half_ip_CI_unitstride_sbrr_dirReg,@function
fft_rtc_back_len135_factors_5_3_3_3_wgs_126_tpt_9_halfLds_half_ip_CI_unitstride_sbrr_dirReg: ; @fft_rtc_back_len135_factors_5_3_3_3_wgs_126_tpt_9_halfLds_half_ip_CI_unitstride_sbrr_dirReg
; %bb.0:
	s_load_dwordx2 s[2:3], s[4:5], 0x50
	s_load_dwordx4 s[8:11], s[4:5], 0x0
	s_load_dwordx2 s[12:13], s[4:5], 0x18
	v_mul_u32_u24_e32 v1, 0x1c72, v0
	v_lshrrev_b32_e32 v1, 16, v1
	v_mad_u64_u32 v[4:5], s[0:1], s6, 14, v[1:2]
	v_mov_b32_e32 v6, 0
	s_waitcnt lgkmcnt(0)
	v_cmp_lt_u64_e64 s[0:1], s[10:11], 2
	v_mov_b32_e32 v5, v6
	v_mov_b32_e32 v1, 0
	;; [unrolled: 1-line block ×3, first 2 shown]
	s_and_b64 vcc, exec, s[0:1]
	v_mov_b32_e32 v2, 0
	v_mov_b32_e32 v10, v4
	s_cbranch_vccnz .LBB0_8
; %bb.1:
	s_load_dwordx2 s[0:1], s[4:5], 0x10
	s_add_u32 s6, s12, 8
	s_addc_u32 s7, s13, 0
	v_mov_b32_e32 v1, 0
	v_mov_b32_e32 v9, v5
	s_waitcnt lgkmcnt(0)
	s_add_u32 s16, s0, 8
	s_mov_b64 s[14:15], 1
	v_mov_b32_e32 v2, 0
	s_addc_u32 s17, s1, 0
	v_mov_b32_e32 v8, v4
.LBB0_2:                                ; =>This Inner Loop Header: Depth=1
	s_load_dwordx2 s[18:19], s[16:17], 0x0
                                        ; implicit-def: $vgpr10_vgpr11
	s_waitcnt lgkmcnt(0)
	v_or_b32_e32 v7, s19, v9
	v_cmp_ne_u64_e32 vcc, 0, v[6:7]
	s_and_saveexec_b64 s[0:1], vcc
	s_xor_b64 s[20:21], exec, s[0:1]
	s_cbranch_execz .LBB0_4
; %bb.3:                                ;   in Loop: Header=BB0_2 Depth=1
	v_cvt_f32_u32_e32 v3, s18
	v_cvt_f32_u32_e32 v5, s19
	s_sub_u32 s0, 0, s18
	s_subb_u32 s1, 0, s19
	v_mac_f32_e32 v3, 0x4f800000, v5
	v_rcp_f32_e32 v3, v3
	v_mul_f32_e32 v3, 0x5f7ffffc, v3
	v_mul_f32_e32 v5, 0x2f800000, v3
	v_trunc_f32_e32 v5, v5
	v_mac_f32_e32 v3, 0xcf800000, v5
	v_cvt_u32_f32_e32 v5, v5
	v_cvt_u32_f32_e32 v3, v3
	v_mul_lo_u32 v7, s0, v5
	v_mul_hi_u32 v10, s0, v3
	v_mul_lo_u32 v12, s1, v3
	v_mul_lo_u32 v11, s0, v3
	v_add_u32_e32 v7, v10, v7
	v_add_u32_e32 v7, v7, v12
	v_mul_hi_u32 v10, v3, v11
	v_mul_lo_u32 v12, v3, v7
	v_mul_hi_u32 v14, v3, v7
	v_mul_hi_u32 v13, v5, v11
	v_mul_lo_u32 v11, v5, v11
	v_mul_hi_u32 v15, v5, v7
	v_add_co_u32_e32 v10, vcc, v10, v12
	v_addc_co_u32_e32 v12, vcc, 0, v14, vcc
	v_mul_lo_u32 v7, v5, v7
	v_add_co_u32_e32 v10, vcc, v10, v11
	v_addc_co_u32_e32 v10, vcc, v12, v13, vcc
	v_addc_co_u32_e32 v11, vcc, 0, v15, vcc
	v_add_co_u32_e32 v7, vcc, v10, v7
	v_addc_co_u32_e32 v10, vcc, 0, v11, vcc
	v_add_co_u32_e32 v3, vcc, v3, v7
	v_addc_co_u32_e32 v5, vcc, v5, v10, vcc
	v_mul_lo_u32 v7, s0, v5
	v_mul_hi_u32 v10, s0, v3
	v_mul_lo_u32 v11, s1, v3
	v_mul_lo_u32 v12, s0, v3
	v_add_u32_e32 v7, v10, v7
	v_add_u32_e32 v7, v7, v11
	v_mul_lo_u32 v13, v3, v7
	v_mul_hi_u32 v14, v3, v12
	v_mul_hi_u32 v15, v3, v7
	;; [unrolled: 1-line block ×3, first 2 shown]
	v_mul_lo_u32 v12, v5, v12
	v_mul_hi_u32 v10, v5, v7
	v_add_co_u32_e32 v13, vcc, v14, v13
	v_addc_co_u32_e32 v14, vcc, 0, v15, vcc
	v_mul_lo_u32 v7, v5, v7
	v_add_co_u32_e32 v12, vcc, v13, v12
	v_addc_co_u32_e32 v11, vcc, v14, v11, vcc
	v_addc_co_u32_e32 v10, vcc, 0, v10, vcc
	v_add_co_u32_e32 v7, vcc, v11, v7
	v_addc_co_u32_e32 v10, vcc, 0, v10, vcc
	v_add_co_u32_e32 v3, vcc, v3, v7
	v_addc_co_u32_e32 v5, vcc, v5, v10, vcc
	v_mad_u64_u32 v[10:11], s[0:1], v8, v5, 0
	v_mul_hi_u32 v7, v8, v3
	v_mad_u64_u32 v[12:13], s[0:1], v9, v5, 0
	v_add_co_u32_e32 v7, vcc, v7, v10
	v_addc_co_u32_e32 v14, vcc, 0, v11, vcc
	v_mad_u64_u32 v[10:11], s[0:1], v9, v3, 0
	v_add_co_u32_e32 v3, vcc, v7, v10
	v_addc_co_u32_e32 v3, vcc, v14, v11, vcc
	v_addc_co_u32_e32 v5, vcc, 0, v13, vcc
	v_add_co_u32_e32 v3, vcc, v3, v12
	v_addc_co_u32_e32 v5, vcc, 0, v5, vcc
	v_mul_lo_u32 v7, s19, v3
	v_mul_lo_u32 v12, s18, v5
	v_mad_u64_u32 v[10:11], s[0:1], s18, v3, 0
	v_add3_u32 v7, v11, v12, v7
	v_sub_u32_e32 v11, v9, v7
	v_mov_b32_e32 v12, s19
	v_sub_co_u32_e32 v10, vcc, v8, v10
	v_subb_co_u32_e64 v11, s[0:1], v11, v12, vcc
	v_subrev_co_u32_e64 v12, s[0:1], s18, v10
	v_subbrev_co_u32_e64 v11, s[0:1], 0, v11, s[0:1]
	v_cmp_le_u32_e64 s[0:1], s19, v11
	v_cndmask_b32_e64 v13, 0, -1, s[0:1]
	v_cmp_le_u32_e64 s[0:1], s18, v12
	v_cndmask_b32_e64 v12, 0, -1, s[0:1]
	v_cmp_eq_u32_e64 s[0:1], s19, v11
	v_cndmask_b32_e64 v11, v13, v12, s[0:1]
	v_add_co_u32_e64 v12, s[0:1], 2, v3
	v_addc_co_u32_e64 v13, s[0:1], 0, v5, s[0:1]
	v_add_co_u32_e64 v14, s[0:1], 1, v3
	v_addc_co_u32_e64 v15, s[0:1], 0, v5, s[0:1]
	v_subb_co_u32_e32 v7, vcc, v9, v7, vcc
	v_cmp_ne_u32_e64 s[0:1], 0, v11
	v_cmp_le_u32_e32 vcc, s19, v7
	v_cndmask_b32_e64 v11, v15, v13, s[0:1]
	v_cndmask_b32_e64 v13, 0, -1, vcc
	v_cmp_le_u32_e32 vcc, s18, v10
	v_cndmask_b32_e64 v10, 0, -1, vcc
	v_cmp_eq_u32_e32 vcc, s19, v7
	v_cndmask_b32_e32 v7, v13, v10, vcc
	v_cmp_ne_u32_e32 vcc, 0, v7
	v_cndmask_b32_e32 v11, v5, v11, vcc
	v_cndmask_b32_e64 v5, v14, v12, s[0:1]
	v_cndmask_b32_e32 v10, v3, v5, vcc
.LBB0_4:                                ;   in Loop: Header=BB0_2 Depth=1
	s_andn2_saveexec_b64 s[0:1], s[20:21]
	s_cbranch_execz .LBB0_6
; %bb.5:                                ;   in Loop: Header=BB0_2 Depth=1
	v_cvt_f32_u32_e32 v3, s18
	s_sub_i32 s20, 0, s18
	v_mov_b32_e32 v11, v6
	v_rcp_iflag_f32_e32 v3, v3
	v_mul_f32_e32 v3, 0x4f7ffffe, v3
	v_cvt_u32_f32_e32 v3, v3
	v_mul_lo_u32 v5, s20, v3
	v_mul_hi_u32 v5, v3, v5
	v_add_u32_e32 v3, v3, v5
	v_mul_hi_u32 v3, v8, v3
	v_mul_lo_u32 v5, v3, s18
	v_add_u32_e32 v7, 1, v3
	v_sub_u32_e32 v5, v8, v5
	v_subrev_u32_e32 v10, s18, v5
	v_cmp_le_u32_e32 vcc, s18, v5
	v_cndmask_b32_e32 v5, v5, v10, vcc
	v_cndmask_b32_e32 v3, v3, v7, vcc
	v_add_u32_e32 v7, 1, v3
	v_cmp_le_u32_e32 vcc, s18, v5
	v_cndmask_b32_e32 v10, v3, v7, vcc
.LBB0_6:                                ;   in Loop: Header=BB0_2 Depth=1
	s_or_b64 exec, exec, s[0:1]
	v_mul_lo_u32 v3, v11, s18
	v_mul_lo_u32 v5, v10, s19
	v_mad_u64_u32 v[12:13], s[0:1], v10, s18, 0
	s_load_dwordx2 s[0:1], s[6:7], 0x0
	s_add_u32 s14, s14, 1
	v_add3_u32 v3, v13, v5, v3
	v_sub_co_u32_e32 v5, vcc, v8, v12
	v_subb_co_u32_e32 v3, vcc, v9, v3, vcc
	s_waitcnt lgkmcnt(0)
	v_mul_lo_u32 v3, s0, v3
	v_mul_lo_u32 v7, s1, v5
	v_mad_u64_u32 v[1:2], s[0:1], s0, v5, v[1:2]
	s_addc_u32 s15, s15, 0
	s_add_u32 s6, s6, 8
	v_add3_u32 v2, v7, v2, v3
	v_mov_b32_e32 v7, s10
	v_mov_b32_e32 v8, s11
	s_addc_u32 s7, s7, 0
	v_cmp_ge_u64_e32 vcc, s[14:15], v[7:8]
	s_add_u32 s16, s16, 8
	s_addc_u32 s17, s17, 0
	s_cbranch_vccnz .LBB0_8
; %bb.7:                                ;   in Loop: Header=BB0_2 Depth=1
	v_mov_b32_e32 v8, v10
	v_mov_b32_e32 v9, v11
	s_branch .LBB0_2
.LBB0_8:
	s_lshl_b64 s[0:1], s[10:11], 3
	s_add_u32 s0, s12, s0
	s_addc_u32 s1, s13, s1
	s_load_dwordx2 s[6:7], s[0:1], 0x0
	s_load_dwordx2 s[10:11], s[4:5], 0x20
                                        ; implicit-def: $vgpr7
                                        ; implicit-def: $vgpr8
                                        ; implicit-def: $vgpr12
                                        ; implicit-def: $vgpr9
                                        ; implicit-def: $vgpr13
                                        ; implicit-def: $vgpr14
                                        ; implicit-def: $vgpr18
                                        ; implicit-def: $vgpr19
                                        ; implicit-def: $vgpr20
                                        ; implicit-def: $vgpr16
                                        ; implicit-def: $vgpr21
                                        ; implicit-def: $vgpr22
                                        ; implicit-def: $vgpr15
                                        ; implicit-def: $vgpr23
                                        ; implicit-def: $vgpr17
                                        ; implicit-def: $vgpr29
                                        ; implicit-def: $vgpr27
                                        ; implicit-def: $vgpr30
                                        ; implicit-def: $vgpr26
                                        ; implicit-def: $vgpr31
                                        ; implicit-def: $vgpr24
                                        ; implicit-def: $vgpr32
                                        ; implicit-def: $vgpr25
                                        ; implicit-def: $vgpr33
                                        ; implicit-def: $vgpr28
	s_waitcnt lgkmcnt(0)
	v_mad_u64_u32 v[1:2], s[0:1], s6, v10, v[1:2]
	v_mul_lo_u32 v3, s6, v11
	v_mul_lo_u32 v5, s7, v10
	s_mov_b32 s0, 0x1c71c71d
	v_mul_hi_u32 v6, v0, s0
	v_cmp_gt_u64_e32 vcc, s[10:11], v[10:11]
	v_add3_u32 v2, v5, v2, v3
	v_lshlrev_b64 v[2:3], 2, v[1:2]
	v_mul_u32_u24_e32 v5, 9, v6
	v_sub_u32_e32 v0, v0, v5
                                        ; implicit-def: $vgpr6
                                        ; implicit-def: $vgpr10
                                        ; implicit-def: $vgpr11
                                        ; implicit-def: $vgpr1
                                        ; implicit-def: $vgpr5
	s_and_saveexec_b64 s[4:5], vcc
	s_cbranch_execz .LBB0_10
; %bb.9:
	v_mov_b32_e32 v1, 0
	v_mov_b32_e32 v5, s3
	v_add_co_u32_e64 v7, s[0:1], s2, v2
	v_addc_co_u32_e64 v8, s[0:1], v5, v3, s[0:1]
	v_lshlrev_b64 v[5:6], 2, v[0:1]
	v_add_co_u32_e64 v7, s[0:1], v7, v5
	v_addc_co_u32_e64 v8, s[0:1], v8, v6, s[0:1]
	global_load_dword v25, v[7:8], off offset:108
	global_load_dword v24, v[7:8], off offset:216
	global_load_dword v28, v[7:8], off
	global_load_dword v26, v[7:8], off offset:324
	global_load_dword v27, v[7:8], off offset:432
	;; [unrolled: 1-line block ×12, first 2 shown]
	s_waitcnt vmcnt(14)
	v_lshrrev_b32_e32 v32, 16, v25
	s_waitcnt vmcnt(13)
	v_lshrrev_b32_e32 v31, 16, v24
	;; [unrolled: 2-line block ×15, first 2 shown]
.LBB0_10:
	s_or_b64 exec, exec, s[4:5]
	v_lshrrev_b32_e32 v34, 1, v4
	s_mov_b32 s0, 0x92492493
	v_mul_hi_u32 v34, v34, s0
	v_add_f16_e32 v35, v26, v24
	v_sub_f16_e32 v36, v32, v29
	s_mov_b32 s0, 0xbb9c
	v_lshrrev_b32_e32 v34, 2, v34
	v_mul_lo_u32 v34, v34, 14
	v_sub_f16_e32 v37, v25, v24
	v_fma_f16 v35, v35, -0.5, v28
	s_movk_i32 s5, 0x3b9c
	v_sub_u32_e32 v34, v4, v34
	v_sub_f16_e32 v4, v27, v26
	v_add_f16_e32 v4, v4, v37
	v_fma_f16 v37, v36, s0, v35
	s_mov_b32 s4, 0xb8b4
	v_sub_f16_e32 v38, v31, v30
	v_fma_f16 v35, v36, s5, v35
	s_movk_i32 s6, 0x38b4
	v_fma_f16 v37, v38, s4, v37
	s_movk_i32 s1, 0x34f2
	v_fma_f16 v35, v38, s6, v35
	v_fma_f16 v37, v4, s1, v37
	;; [unrolled: 1-line block ×3, first 2 shown]
	v_sub_f16_e32 v4, v24, v25
	v_sub_f16_e32 v39, v26, v27
	v_add_f16_e32 v39, v39, v4
	v_add_f16_e32 v4, v27, v25
	v_fma_f16 v4, v4, -0.5, v28
	v_fma_f16 v40, v38, s5, v4
	v_fma_f16 v4, v38, s0, v4
	;; [unrolled: 1-line block ×4, first 2 shown]
	v_add_f16_e32 v4, v25, v28
	v_add_f16_e32 v4, v24, v4
	;; [unrolled: 1-line block ×4, first 2 shown]
	v_sub_f16_e32 v24, v24, v26
	v_sub_f16_e32 v4, v32, v31
	;; [unrolled: 1-line block ×3, first 2 shown]
	v_add_f16_e32 v4, v26, v4
	v_add_f16_e32 v26, v30, v31
	v_sub_f16_e32 v25, v25, v27
	v_fma_f16 v26, v26, -0.5, v33
	v_fma_f16 v27, v25, s5, v26
	v_fma_f16 v26, v25, s0, v26
	;; [unrolled: 1-line block ×6, first 2 shown]
	v_add_f16_e32 v26, v29, v32
	v_fma_f16 v26, v26, -0.5, v33
	v_add_f16_e32 v33, v32, v33
	v_add_f16_e32 v33, v31, v33
	v_sub_f16_e32 v31, v31, v32
	v_add_f16_e32 v32, v30, v33
	v_add_f16_e32 v32, v29, v32
	v_sub_f16_e32 v29, v30, v29
	v_fma_f16 v30, v24, s0, v26
	v_fma_f16 v24, v24, s5, v26
	v_add_f16_e32 v29, v29, v31
	v_fma_f16 v30, v25, s6, v30
	v_fma_f16 v24, v25, s4, v24
	;; [unrolled: 1-line block ×4, first 2 shown]
	v_add_f16_e32 v25, v16, v5
	v_sub_f16_e32 v26, v15, v5
	v_sub_f16_e32 v29, v19, v16
	v_fma_f16 v25, v25, -0.5, v17
	v_add_f16_e32 v26, v29, v26
	v_sub_f16_e32 v29, v22, v18
	v_fma_f16 v31, v29, s0, v25
	v_sub_f16_e32 v33, v21, v20
	v_fma_f16 v25, v29, s5, v25
	v_fma_f16 v31, v33, s4, v31
	;; [unrolled: 1-line block ×5, first 2 shown]
	v_sub_f16_e32 v26, v5, v15
	v_sub_f16_e32 v40, v16, v19
	v_add_f16_e32 v26, v40, v26
	v_add_f16_e32 v40, v19, v15
	v_fma_f16 v40, v40, -0.5, v17
	v_add_f16_e32 v17, v15, v17
	v_add_f16_e32 v17, v5, v17
	;; [unrolled: 1-line block ×4, first 2 shown]
	v_sub_f16_e32 v15, v15, v19
	v_sub_f16_e32 v16, v5, v16
	v_sub_f16_e32 v5, v22, v21
	v_sub_f16_e32 v19, v18, v20
	v_add_f16_e32 v5, v19, v5
	v_add_f16_e32 v19, v20, v21
	v_fma_f16 v41, v33, s5, v40
	v_fma_f16 v33, v33, s0, v40
	v_fma_f16 v19, v19, -0.5, v23
	v_fma_f16 v40, v29, s4, v41
	v_fma_f16 v29, v29, s6, v33
	;; [unrolled: 1-line block ×8, first 2 shown]
	v_add_f16_e32 v19, v18, v22
	v_fma_f16 v19, v19, -0.5, v23
	v_add_f16_e32 v23, v22, v23
	v_add_f16_e32 v23, v21, v23
	v_sub_f16_e32 v21, v21, v22
	v_add_f16_e32 v22, v20, v23
	v_add_f16_e32 v22, v18, v22
	v_sub_f16_e32 v18, v20, v18
	v_fma_f16 v20, v16, s0, v19
	v_fma_f16 v16, v16, s5, v19
	v_add_f16_e32 v18, v18, v21
	v_fma_f16 v19, v15, s6, v20
	v_fma_f16 v15, v15, s4, v16
	;; [unrolled: 1-line block ×4, first 2 shown]
	v_sub_f16_e32 v16, v1, v12
	v_sub_f16_e32 v18, v10, v11
	v_add_f16_e32 v16, v18, v16
	v_add_f16_e32 v18, v11, v12
	v_fma_f16 v18, v18, -0.5, v14
	v_sub_f16_e32 v20, v9, v6
	v_fma_f16 v21, v20, s0, v18
	v_sub_f16_e32 v23, v8, v7
	v_fma_f16 v18, v20, s5, v18
	v_fma_f16 v21, v23, s4, v21
	;; [unrolled: 1-line block ×5, first 2 shown]
	v_sub_f16_e32 v18, v12, v1
	v_sub_f16_e32 v41, v11, v10
	v_add_f16_e32 v18, v41, v18
	v_add_f16_e32 v41, v10, v1
	v_fma_f16 v41, v41, -0.5, v14
	v_add_f16_e32 v14, v1, v14
	v_add_f16_e32 v14, v12, v14
	;; [unrolled: 1-line block ×4, first 2 shown]
	v_sub_f16_e32 v1, v1, v10
	v_sub_f16_e32 v10, v12, v11
	;; [unrolled: 1-line block ×4, first 2 shown]
	v_add_f16_e32 v11, v12, v11
	v_add_f16_e32 v12, v7, v8
	v_fma_f16 v42, v23, s5, v41
	v_fma_f16 v23, v23, s0, v41
	v_fma_f16 v12, v12, -0.5, v13
	v_fma_f16 v41, v20, s4, v42
	v_fma_f16 v20, v20, s6, v23
	v_fma_f16 v23, v1, s5, v12
	v_fma_f16 v12, v1, s0, v12
	v_fma_f16 v12, v10, s4, v12
	v_fma_f16 v42, v11, s1, v12
	v_add_f16_e32 v12, v9, v13
	v_fma_f16 v23, v10, s6, v23
	v_add_f16_e32 v12, v8, v12
	v_fma_f16 v23, v11, s1, v23
	v_add_f16_e32 v11, v6, v9
	v_sub_f16_e32 v8, v8, v9
	v_add_f16_e32 v9, v7, v12
	v_fma_f16 v11, v11, -0.5, v13
	v_add_f16_e32 v43, v6, v9
	v_sub_f16_e32 v6, v7, v6
	v_add_f16_e32 v6, v6, v8
	v_fma_f16 v7, v10, s0, v11
	v_fma_f16 v8, v10, s5, v11
	;; [unrolled: 1-line block ×4, first 2 shown]
	v_mul_u32_u24_e32 v8, 0x87, v34
	v_lshlrev_b32_e32 v11, 1, v8
	v_mul_f16_e32 v9, 0x34f2, v39
	v_fma_f16 v34, v6, s1, v1
	v_add_u32_e32 v10, 0, v11
	v_pack_b32_f16 v1, v38, v36
	v_mul_f16_e32 v12, 0x34f2, v26
	v_fma_f16 v26, v6, s1, v7
	v_mad_u32_u24 v36, v0, 10, v10
	v_pk_add_f16 v7, v9, v1 op_sel_hi:[0,1]
	v_pack_b32_f16 v6, v28, v37
	v_pack_b32_f16 v1, v40, v29
	v_mul_f16_e32 v13, 0x34f2, v18
	ds_write_b64 v36, v[6:7]
	ds_write_b16 v36, v35 offset:8
	v_pk_add_f16 v7, v12, v1 op_sel_hi:[0,1]
	v_pack_b32_f16 v6, v17, v31
	v_pack_b32_f16 v1, v41, v20
	ds_write_b64 v36, v[6:7] offset:90
	ds_write_b16 v36, v25 offset:98
	v_pk_add_f16 v7, v13, v1 op_sel_hi:[0,1]
	v_pack_b32_f16 v6, v14, v21
	ds_write_b64 v36, v[6:7] offset:180
	ds_write_b16 v36, v16 offset:188
	v_lshlrev_b32_e32 v6, 1, v0
	v_add3_u32 v9, 0, v6, v11
	v_pack_b32_f16 v13, v30, v24
	v_pack_b32_f16 v12, v32, v27
	s_waitcnt lgkmcnt(0)
	s_barrier
	v_add_u32_e32 v1, v10, v6
	ds_read_u16 v31, v9 offset:108
	ds_read_u16 v35, v9 offset:126
	;; [unrolled: 1-line block ×3, first 2 shown]
	ds_read_u16 v38, v1
	ds_read_u16 v18, v9 offset:18
	ds_read_u16 v17, v9 offset:36
	;; [unrolled: 1-line block ×11, first 2 shown]
	s_waitcnt lgkmcnt(0)
	s_barrier
	ds_write_b64 v36, v[12:13]
	ds_write_b16 v36, v4 offset:8
	v_pack_b32_f16 v13, v19, v15
	v_pack_b32_f16 v12, v22, v33
	ds_write_b64 v36, v[12:13] offset:90
	ds_write_b16 v36, v5 offset:98
	v_pack_b32_f16 v5, v26, v34
	v_pack_b32_f16 v4, v43, v23
	ds_write_b64 v36, v[4:5] offset:180
	ds_write_b16 v36, v42 offset:188
	v_add_u32_e32 v4, -5, v0
	v_cmp_gt_u32_e64 s[0:1], 5, v0
	v_cndmask_b32_e64 v4, v4, v0, s[0:1]
	v_lshlrev_b32_e32 v4, 1, v4
	v_mov_b32_e32 v5, 0
	v_lshlrev_b64 v[12:13], 2, v[4:5]
	v_mov_b32_e32 v23, s9
	v_add_co_u32_e64 v12, s[0:1], s8, v12
	v_addc_co_u32_e64 v13, s[0:1], v23, v13, s[0:1]
	v_add_u32_e32 v15, 9, v0
	s_movk_i32 s0, 0xcd
	s_waitcnt lgkmcnt(0)
	s_barrier
	global_load_dwordx2 v[19:20], v[12:13], off
	v_mul_lo_u16_sdwa v12, v15, s0 dst_sel:DWORD dst_unused:UNUSED_PAD src0_sel:BYTE_0 src1_sel:DWORD
	v_lshrrev_b16_e32 v33, 10, v12
	v_mul_lo_u16_e32 v12, 5, v33
	v_sub_u16_e32 v34, v15, v12
	v_mov_b32_e32 v16, 3
	v_lshlrev_b32_sdwa v12, v16, v34 dst_sel:DWORD dst_unused:UNUSED_PAD src0_sel:DWORD src1_sel:BYTE_0
	global_load_dwordx2 v[21:22], v12, s[8:9]
	v_add_u32_e32 v12, 18, v0
	v_mul_lo_u16_sdwa v13, v12, s0 dst_sel:DWORD dst_unused:UNUSED_PAD src0_sel:BYTE_0 src1_sel:DWORD
	v_lshrrev_b16_e32 v36, 10, v13
	v_mul_lo_u16_e32 v13, 5, v36
	v_sub_u16_e32 v42, v12, v13
	v_lshlrev_b32_sdwa v13, v16, v42 dst_sel:DWORD dst_unused:UNUSED_PAD src0_sel:DWORD src1_sel:BYTE_0
	global_load_dwordx2 v[24:25], v13, s[8:9]
	v_add_u32_e32 v13, 27, v0
	v_mul_lo_u16_sdwa v14, v13, s0 dst_sel:DWORD dst_unused:UNUSED_PAD src0_sel:BYTE_0 src1_sel:DWORD
	v_lshrrev_b16_e32 v43, 10, v14
	v_mul_lo_u16_e32 v14, 5, v43
	v_sub_u16_e32 v46, v13, v14
	;; [unrolled: 7-line block ×3, first 2 shown]
	v_lshlrev_b32_sdwa v28, v16, v48 dst_sel:DWORD dst_unused:UNUSED_PAD src0_sel:DWORD src1_sel:BYTE_0
	global_load_dwordx2 v[28:29], v28, s[8:9]
	ds_read_u16 v49, v9 offset:90
	ds_read_u16 v50, v9 offset:108
	;; [unrolled: 1-line block ×4, first 2 shown]
	s_mov_b32 s4, 0xbaee
	s_movk_i32 s5, 0x3aee
	v_cmp_lt_u32_e64 s[0:1], 4, v0
	s_waitcnt vmcnt(4) lgkmcnt(3)
	v_mul_f16_sdwa v53, v49, v19 dst_sel:DWORD dst_unused:UNUSED_PAD src0_sel:DWORD src1_sel:WORD_1
	v_fma_f16 v53, v39, v19, v53
	v_mul_f16_sdwa v39, v39, v19 dst_sel:DWORD dst_unused:UNUSED_PAD src0_sel:DWORD src1_sel:WORD_1
	v_fma_f16 v19, v49, v19, -v39
	ds_read_u16 v39, v9 offset:180
	ds_read_u16 v49, v9 offset:198
	;; [unrolled: 1-line block ×6, first 2 shown]
	s_waitcnt lgkmcnt(5)
	v_mul_f16_sdwa v58, v39, v20 dst_sel:DWORD dst_unused:UNUSED_PAD src0_sel:DWORD src1_sel:WORD_1
	v_fma_f16 v58, v44, v20, v58
	v_mul_f16_sdwa v44, v44, v20 dst_sel:DWORD dst_unused:UNUSED_PAD src0_sel:DWORD src1_sel:WORD_1
	v_fma_f16 v20, v39, v20, -v44
	ds_read_u16 v39, v9 offset:144
	s_waitcnt vmcnt(3)
	v_mul_f16_sdwa v44, v50, v21 dst_sel:DWORD dst_unused:UNUSED_PAD src0_sel:DWORD src1_sel:WORD_1
	v_fma_f16 v44, v31, v21, v44
	v_mul_f16_sdwa v31, v31, v21 dst_sel:DWORD dst_unused:UNUSED_PAD src0_sel:DWORD src1_sel:WORD_1
	v_fma_f16 v50, v50, v21, -v31
	s_waitcnt lgkmcnt(5)
	v_mul_f16_sdwa v21, v49, v22 dst_sel:DWORD dst_unused:UNUSED_PAD src0_sel:DWORD src1_sel:WORD_1
	v_fma_f16 v59, v30, v22, v21
	v_mul_f16_sdwa v21, v30, v22 dst_sel:DWORD dst_unused:UNUSED_PAD src0_sel:DWORD src1_sel:WORD_1
	v_fma_f16 v49, v49, v22, -v21
	s_waitcnt vmcnt(2)
	v_mul_f16_sdwa v21, v51, v24 dst_sel:DWORD dst_unused:UNUSED_PAD src0_sel:DWORD src1_sel:WORD_1
	v_fma_f16 v60, v35, v24, v21
	v_mul_f16_sdwa v21, v35, v24 dst_sel:DWORD dst_unused:UNUSED_PAD src0_sel:DWORD src1_sel:WORD_1
	s_waitcnt vmcnt(1) lgkmcnt(0)
	v_mul_f16_sdwa v22, v39, v26 dst_sel:DWORD dst_unused:UNUSED_PAD src0_sel:DWORD src1_sel:WORD_1
	v_fma_f16 v64, v37, v26, v22
	v_mul_f16_sdwa v22, v37, v26 dst_sel:DWORD dst_unused:UNUSED_PAD src0_sel:DWORD src1_sel:WORD_1
	v_fma_f16 v37, v39, v26, -v22
	v_mul_f16_sdwa v22, v55, v27 dst_sel:DWORD dst_unused:UNUSED_PAD src0_sel:DWORD src1_sel:WORD_1
	v_fma_f16 v39, v40, v27, v22
	v_mul_f16_sdwa v22, v40, v27 dst_sel:DWORD dst_unused:UNUSED_PAD src0_sel:DWORD src1_sel:WORD_1
	v_fma_f16 v40, v55, v27, -v22
	s_waitcnt vmcnt(0)
	v_mul_f16_sdwa v22, v57, v28 dst_sel:DWORD dst_unused:UNUSED_PAD src0_sel:DWORD src1_sel:WORD_1
	v_fma_f16 v55, v45, v28, v22
	v_mul_f16_sdwa v22, v45, v28 dst_sel:DWORD dst_unused:UNUSED_PAD src0_sel:DWORD src1_sel:WORD_1
	v_fma_f16 v35, v51, v24, -v21
	v_mul_f16_sdwa v21, v54, v25 dst_sel:DWORD dst_unused:UNUSED_PAD src0_sel:DWORD src1_sel:WORD_1
	v_fma_f16 v45, v57, v28, -v22
	v_mul_f16_sdwa v22, v56, v29 dst_sel:DWORD dst_unused:UNUSED_PAD src0_sel:DWORD src1_sel:WORD_1
	v_fma_f16 v51, v32, v25, v21
	v_mul_f16_sdwa v21, v32, v25 dst_sel:DWORD dst_unused:UNUSED_PAD src0_sel:DWORD src1_sel:WORD_1
	v_fma_f16 v57, v41, v29, v22
	v_mul_f16_sdwa v22, v41, v29 dst_sel:DWORD dst_unused:UNUSED_PAD src0_sel:DWORD src1_sel:WORD_1
	v_fma_f16 v54, v54, v25, -v21
	ds_read_u16 v21, v1
	ds_read_u16 v61, v9 offset:18
	ds_read_u16 v62, v9 offset:36
	;; [unrolled: 1-line block ×3, first 2 shown]
	v_fma_f16 v41, v56, v29, -v22
	v_add_f16_e32 v22, v53, v58
	v_fma_f16 v22, v22, -0.5, v38
	v_sub_f16_e32 v24, v19, v20
	v_fma_f16 v25, v24, s4, v22
	v_fma_f16 v22, v24, s5, v22
	s_waitcnt lgkmcnt(3)
	v_add_f16_e32 v24, v21, v19
	v_add_f16_e32 v19, v19, v20
	v_fma_f16 v19, v19, -0.5, v21
	v_sub_f16_e32 v21, v53, v58
	v_add_f16_e32 v56, v24, v20
	v_add_f16_e32 v20, v38, v53
	v_fma_f16 v38, v21, s5, v19
	v_fma_f16 v53, v21, s4, v19
	v_add_f16_e32 v19, v44, v59
	v_fma_f16 v19, v19, -0.5, v18
	v_sub_f16_e32 v21, v50, v49
	v_fma_f16 v24, v21, s4, v19
	v_fma_f16 v19, v21, s5, v19
	v_add_f16_e32 v21, v60, v51
	v_fma_f16 v21, v21, -0.5, v17
	v_sub_f16_e32 v26, v35, v54
	;; [unrolled: 5-line block ×4, first 2 shown]
	v_fma_f16 v31, v30, s4, v28
	v_fma_f16 v28, v30, s5, v28
	v_cndmask_b32_e64 v30, 0, 30, s[0:1]
	v_add_u32_e32 v30, 0, v30
	v_add_f16_e32 v20, v20, v58
	v_add3_u32 v4, v30, v4, v11
	s_waitcnt lgkmcnt(0)
	s_barrier
	ds_write_b16 v4, v20
	ds_write_b16 v4, v25 offset:10
	ds_write_b16 v4, v22 offset:20
	v_mov_b32_e32 v20, 1
	v_lshlrev_b32_sdwa v22, v20, v34 dst_sel:DWORD dst_unused:UNUSED_PAD src0_sel:DWORD src1_sel:BYTE_0
	v_mad_u32_u24 v25, v33, 30, 0
	v_add_f16_e32 v18, v18, v44
	v_add3_u32 v34, v25, v22, v11
	v_add_f16_e32 v18, v18, v59
	ds_write_b16 v34, v18
	ds_write_b16 v34, v24 offset:10
	ds_write_b16 v34, v19 offset:20
	v_lshlrev_b32_sdwa v18, v20, v42 dst_sel:DWORD dst_unused:UNUSED_PAD src0_sel:DWORD src1_sel:BYTE_0
	v_mad_u32_u24 v19, v36, 30, 0
	v_add_f16_e32 v17, v17, v60
	v_add3_u32 v36, v19, v18, v11
	v_add_f16_e32 v17, v17, v51
	ds_write_b16 v36, v17
	ds_write_b16 v36, v27 offset:10
	ds_write_b16 v36, v21 offset:20
	;; [unrolled: 8-line block ×4, first 2 shown]
	v_add_f16_e32 v7, v50, v49
	s_waitcnt lgkmcnt(0)
	s_barrier
	ds_read_u16 v29, v9 offset:108
	ds_read_u16 v26, v9 offset:126
	;; [unrolled: 1-line block ×3, first 2 shown]
	ds_read_u16 v22, v1
	ds_read_u16 v21, v9 offset:18
	ds_read_u16 v19, v9 offset:36
	;; [unrolled: 1-line block ×11, first 2 shown]
	s_waitcnt lgkmcnt(0)
	s_barrier
	ds_write_b16 v4, v56
	ds_write_b16 v4, v38 offset:10
	ds_write_b16 v4, v53 offset:20
	v_add_f16_e32 v4, v61, v50
	v_fma_f16 v7, v7, -0.5, v61
	v_sub_f16_e32 v38, v44, v59
	v_add_f16_e32 v4, v4, v49
	v_fma_f16 v43, v38, s5, v7
	v_fma_f16 v7, v38, s4, v7
	ds_write_b16 v34, v4
	ds_write_b16 v34, v43 offset:10
	ds_write_b16 v34, v7 offset:20
	v_add_f16_e32 v7, v35, v54
	v_add_f16_e32 v4, v62, v35
	v_fma_f16 v7, v7, -0.5, v62
	v_sub_f16_e32 v34, v60, v51
	v_add_f16_e32 v4, v4, v54
	v_fma_f16 v35, v34, s5, v7
	v_fma_f16 v7, v34, s4, v7
	ds_write_b16 v36, v4
	ds_write_b16 v36, v35 offset:10
	ds_write_b16 v36, v7 offset:20
	v_add_f16_e32 v7, v37, v40
	;; [unrolled: 10-line block ×3, first 2 shown]
	v_add_f16_e32 v4, v52, v45
	v_fma_f16 v7, v7, -0.5, v52
	v_sub_f16_e32 v34, v55, v57
	v_add_f16_e32 v4, v4, v41
	v_fma_f16 v35, v34, s5, v7
	v_fma_f16 v7, v34, s4, v7
	ds_write_b16 v8, v4
	ds_write_b16 v8, v35 offset:10
	ds_write_b16 v8, v7 offset:20
	v_mov_b32_e32 v7, v5
	v_lshlrev_b64 v[7:8], 2, v[6:7]
	v_add_u32_e32 v4, -6, v0
	v_add_co_u32_e64 v7, s[0:1], s8, v7
	v_addc_co_u32_e64 v8, s[0:1], v23, v8, s[0:1]
	v_cmp_gt_u32_e64 s[0:1], 6, v0
	v_cndmask_b32_e64 v4, v4, v15, s[0:1]
	v_lshlrev_b32_e32 v4, 1, v4
	v_lshlrev_b64 v[36:37], 2, v[4:5]
	v_add_u32_e32 v38, 6, v6
	v_mov_b32_e32 v39, v5
	s_waitcnt lgkmcnt(0)
	s_barrier
	global_load_dwordx2 v[34:35], v[7:8], off offset:40
	v_add_co_u32_e64 v36, s[0:1], s8, v36
	v_lshlrev_b64 v[38:39], 2, v[38:39]
	v_addc_co_u32_e64 v37, s[0:1], v23, v37, s[0:1]
	v_add_co_u32_e64 v38, s[0:1], s8, v38
	v_addc_co_u32_e64 v39, s[0:1], v23, v39, s[0:1]
	global_load_dwordx2 v[38:39], v[38:39], off offset:40
	s_movk_i32 s0, 0x89
	global_load_dwordx2 v[36:37], v[36:37], off offset:40
	v_mul_lo_u16_sdwa v6, v13, s0 dst_sel:DWORD dst_unused:UNUSED_PAD src0_sel:BYTE_0 src1_sel:DWORD
	v_lshrrev_b16_e32 v6, 11, v6
	v_mul_lo_u16_e32 v23, 15, v6
	v_sub_u16_e32 v23, v13, v23
	v_lshlrev_b32_sdwa v16, v16, v23 dst_sel:DWORD dst_unused:UNUSED_PAD src0_sel:DWORD src1_sel:BYTE_0
	global_load_dwordx2 v[40:41], v16, s[8:9] offset:40
	v_mul_lo_u16_sdwa v16, v14, s0 dst_sel:DWORD dst_unused:UNUSED_PAD src0_sel:BYTE_0 src1_sel:DWORD
	v_lshrrev_b16_e32 v16, 11, v16
	v_mul_lo_u16_e32 v16, 15, v16
	v_sub_u16_e32 v16, v14, v16
	v_and_b32_e32 v16, 0xff, v16
	v_lshlrev_b32_e32 v42, 3, v16
	global_load_dwordx2 v[42:43], v42, s[8:9] offset:40
	ds_read_u16 v44, v9 offset:90
	ds_read_u16 v45, v9 offset:108
	;; [unrolled: 1-line block ×3, first 2 shown]
	ds_read_u16 v47, v1
	ds_read_u16 v48, v9 offset:18
	ds_read_u16 v49, v9 offset:36
	;; [unrolled: 1-line block ×4, first 2 shown]
	v_lshlrev_b32_sdwa v20, v20, v23 dst_sel:DWORD dst_unused:UNUSED_PAD src0_sel:DWORD src1_sel:BYTE_0
	s_movk_i32 s0, 0x5a
	v_mad_u32_u24 v6, v6, s0, 0
	v_cmp_lt_u32_e64 s[0:1], 5, v0
	s_waitcnt vmcnt(4) lgkmcnt(7)
	v_mul_f16_sdwa v52, v44, v34 dst_sel:DWORD dst_unused:UNUSED_PAD src0_sel:DWORD src1_sel:WORD_1
	v_fma_f16 v52, v33, v34, v52
	v_mul_f16_sdwa v33, v33, v34 dst_sel:DWORD dst_unused:UNUSED_PAD src0_sel:DWORD src1_sel:WORD_1
	v_fma_f16 v33, v44, v34, -v33
	ds_read_u16 v34, v9 offset:144
	ds_read_u16 v44, v9 offset:180
	;; [unrolled: 1-line block ×7, first 2 shown]
	s_waitcnt lgkmcnt(5)
	v_mul_f16_sdwa v58, v44, v35 dst_sel:DWORD dst_unused:UNUSED_PAD src0_sel:DWORD src1_sel:WORD_1
	v_fma_f16 v58, v32, v35, v58
	v_mul_f16_sdwa v32, v32, v35 dst_sel:DWORD dst_unused:UNUSED_PAD src0_sel:DWORD src1_sel:WORD_1
	v_fma_f16 v32, v44, v35, -v32
	v_add_f16_e32 v23, v52, v58
	v_fma_f16 v23, v23, -0.5, v22
	v_add_f16_e32 v22, v22, v52
	s_waitcnt vmcnt(2)
	v_mul_f16_sdwa v35, v45, v36 dst_sel:DWORD dst_unused:UNUSED_PAD src0_sel:DWORD src1_sel:WORD_1
	v_fma_f16 v35, v29, v36, v35
	v_mul_f16_sdwa v29, v29, v36 dst_sel:DWORD dst_unused:UNUSED_PAD src0_sel:DWORD src1_sel:WORD_1
	v_fma_f16 v29, v45, v36, -v29
	s_waitcnt lgkmcnt(4)
	v_mul_f16_sdwa v36, v53, v37 dst_sel:DWORD dst_unused:UNUSED_PAD src0_sel:DWORD src1_sel:WORD_1
	v_fma_f16 v36, v31, v37, v36
	v_mul_f16_sdwa v31, v31, v37 dst_sel:DWORD dst_unused:UNUSED_PAD src0_sel:DWORD src1_sel:WORD_1
	v_fma_f16 v31, v53, v37, -v31
	v_mul_f16_sdwa v37, v46, v38 dst_sel:DWORD dst_unused:UNUSED_PAD src0_sel:DWORD src1_sel:WORD_1
	v_fma_f16 v37, v26, v38, v37
	v_mul_f16_sdwa v26, v26, v38 dst_sel:DWORD dst_unused:UNUSED_PAD src0_sel:DWORD src1_sel:WORD_1
	v_fma_f16 v38, v46, v38, -v26
	s_waitcnt lgkmcnt(3)
	v_mul_f16_sdwa v26, v54, v39 dst_sel:DWORD dst_unused:UNUSED_PAD src0_sel:DWORD src1_sel:WORD_1
	v_fma_f16 v44, v30, v39, v26
	v_mul_f16_sdwa v26, v30, v39 dst_sel:DWORD dst_unused:UNUSED_PAD src0_sel:DWORD src1_sel:WORD_1
	v_fma_f16 v30, v54, v39, -v26
	s_waitcnt vmcnt(1)
	v_mul_f16_sdwa v26, v34, v40 dst_sel:DWORD dst_unused:UNUSED_PAD src0_sel:DWORD src1_sel:WORD_1
	v_fma_f16 v39, v24, v40, v26
	v_mul_f16_sdwa v24, v24, v40 dst_sel:DWORD dst_unused:UNUSED_PAD src0_sel:DWORD src1_sel:WORD_1
	v_fma_f16 v34, v34, v40, -v24
	s_waitcnt lgkmcnt(2)
	v_mul_f16_sdwa v24, v55, v41 dst_sel:DWORD dst_unused:UNUSED_PAD src0_sel:DWORD src1_sel:WORD_1
	v_fma_f16 v40, v27, v41, v24
	v_mul_f16_sdwa v24, v27, v41 dst_sel:DWORD dst_unused:UNUSED_PAD src0_sel:DWORD src1_sel:WORD_1
	v_fma_f16 v41, v55, v41, -v24
	s_waitcnt vmcnt(0) lgkmcnt(0)
	v_mul_f16_sdwa v24, v57, v42 dst_sel:DWORD dst_unused:UNUSED_PAD src0_sel:DWORD src1_sel:WORD_1
	v_fma_f16 v45, v28, v42, v24
	v_mul_f16_sdwa v24, v28, v42 dst_sel:DWORD dst_unused:UNUSED_PAD src0_sel:DWORD src1_sel:WORD_1
	v_fma_f16 v28, v57, v42, -v24
	v_mul_f16_sdwa v24, v56, v43 dst_sel:DWORD dst_unused:UNUSED_PAD src0_sel:DWORD src1_sel:WORD_1
	v_fma_f16 v42, v25, v43, v24
	v_mul_f16_sdwa v24, v25, v43 dst_sel:DWORD dst_unused:UNUSED_PAD src0_sel:DWORD src1_sel:WORD_1
	v_fma_f16 v43, v56, v43, -v24
	v_sub_f16_e32 v24, v33, v32
	v_fma_f16 v25, v24, s4, v23
	v_fma_f16 v23, v24, s5, v23
	v_add_f16_e32 v24, v47, v33
	v_add_f16_e32 v46, v24, v32
	;; [unrolled: 1-line block ×3, first 2 shown]
	v_fma_f16 v24, v24, -0.5, v47
	v_sub_f16_e32 v26, v52, v58
	v_fma_f16 v32, v26, s5, v24
	v_fma_f16 v33, v26, s4, v24
	v_add_f16_e32 v24, v35, v36
	v_fma_f16 v24, v24, -0.5, v21
	v_sub_f16_e32 v26, v29, v31
	v_fma_f16 v27, v26, s4, v24
	v_fma_f16 v24, v26, s5, v24
	v_add_f16_e32 v26, v48, v29
	v_add_f16_e32 v47, v26, v31
	;; [unrolled: 1-line block ×3, first 2 shown]
	v_fma_f16 v26, v26, -0.5, v48
	v_sub_f16_e32 v29, v35, v36
	v_fma_f16 v31, v29, s5, v26
	v_fma_f16 v29, v29, s4, v26
	v_add_f16_e32 v26, v37, v44
	v_add_f16_e32 v21, v21, v35
	v_fma_f16 v26, v26, -0.5, v19
	v_sub_f16_e32 v35, v38, v30
	v_add_f16_e32 v21, v21, v36
	v_fma_f16 v36, v35, s4, v26
	v_fma_f16 v26, v35, s5, v26
	v_add_f16_e32 v35, v39, v40
	v_fma_f16 v35, v35, -0.5, v18
	v_sub_f16_e32 v48, v34, v41
	v_fma_f16 v52, v48, s4, v35
	v_fma_f16 v35, v48, s5, v35
	v_add_f16_e32 v48, v45, v42
	v_fma_f16 v48, v48, -0.5, v17
	v_sub_f16_e32 v53, v28, v43
	v_fma_f16 v54, v53, s4, v48
	v_fma_f16 v48, v53, s5, v48
	v_add3_u32 v53, v6, v20, v11
	v_mov_b32_e32 v6, 0x5a
	v_cndmask_b32_e64 v6, 0, v6, s[0:1]
	v_add_u32_e32 v6, 0, v6
	v_add3_u32 v4, v6, v4, v11
	v_add_f16_e32 v6, v19, v37
	v_add_f16_e32 v22, v22, v58
	;; [unrolled: 1-line block ×3, first 2 shown]
	s_barrier
	ds_write_b16 v9, v22
	ds_write_b16 v9, v25 offset:30
	ds_write_b16 v9, v23 offset:60
	ds_write_b16 v4, v21
	ds_write_b16 v4, v27 offset:30
	ds_write_b16 v4, v24 offset:60
	;; [unrolled: 1-line block ×5, first 2 shown]
	v_add_f16_e32 v6, v18, v39
	v_add_f16_e32 v6, v6, v40
	ds_write_b16 v53, v6
	ds_write_b16 v53, v52 offset:30
	ds_write_b16 v53, v35 offset:60
	v_add_f16_e32 v6, v17, v45
	v_lshl_add_u32 v35, v16, 1, v10
	v_add_f16_e32 v6, v6, v42
	ds_write_b16 v35, v6 offset:180
	ds_write_b16 v35, v54 offset:210
	;; [unrolled: 1-line block ×3, first 2 shown]
	s_waitcnt lgkmcnt(0)
	s_barrier
	ds_read_u16 v6, v1
	ds_read_u16 v11, v9 offset:18
	ds_read_u16 v18, v9 offset:36
	;; [unrolled: 1-line block ×14, first 2 shown]
	s_waitcnt lgkmcnt(0)
	s_barrier
	ds_write_b16 v9, v46
	ds_write_b16 v9, v32 offset:30
	ds_write_b16 v9, v33 offset:60
	ds_write_b16 v4, v47
	ds_write_b16 v4, v31 offset:30
	ds_write_b16 v4, v29 offset:60
	v_add_f16_e32 v4, v49, v38
	v_add_f16_e32 v29, v38, v30
	v_add_f16_e32 v32, v34, v41
	v_add_f16_e32 v4, v4, v30
	v_fma_f16 v29, v29, -0.5, v49
	v_sub_f16_e32 v30, v37, v44
	v_fma_f16 v32, v32, -0.5, v50
	v_sub_f16_e32 v33, v39, v40
	v_fma_f16 v31, v30, s5, v29
	v_fma_f16 v29, v30, s4, v29
	v_add_f16_e32 v30, v50, v34
	v_fma_f16 v34, v33, s5, v32
	v_fma_f16 v32, v33, s4, v32
	v_add_f16_e32 v33, v51, v28
	v_add_f16_e32 v28, v28, v43
	v_fma_f16 v28, v28, -0.5, v51
	v_sub_f16_e32 v36, v45, v42
	v_add_f16_e32 v30, v30, v41
	v_add_f16_e32 v33, v33, v43
	v_fma_f16 v37, v36, s5, v28
	v_fma_f16 v28, v36, s4, v28
	ds_write_b16 v9, v4 offset:96
	ds_write_b16 v9, v31 offset:126
	;; [unrolled: 1-line block ×3, first 2 shown]
	ds_write_b16 v53, v30
	ds_write_b16 v53, v34 offset:30
	ds_write_b16 v53, v32 offset:60
	;; [unrolled: 1-line block ×5, first 2 shown]
	s_waitcnt lgkmcnt(0)
	s_barrier
	s_and_saveexec_b64 s[0:1], vcc
	s_cbranch_execz .LBB0_12
; %bb.11:
	v_lshlrev_b32_e32 v4, 1, v14
	v_lshlrev_b64 v[28:29], 2, v[4:5]
	v_lshlrev_b32_e32 v4, 1, v13
	v_mov_b32_e32 v36, s9
	v_add_co_u32_e32 v28, vcc, s8, v28
	v_lshlrev_b64 v[30:31], 2, v[4:5]
	v_addc_co_u32_e32 v29, vcc, v36, v29, vcc
	v_add_co_u32_e32 v30, vcc, s8, v30
	global_load_dwordx2 v[28:29], v[28:29], off offset:160
	v_addc_co_u32_e32 v31, vcc, v36, v31, vcc
	global_load_dwordx2 v[30:31], v[30:31], off offset:160
	v_lshlrev_b32_e32 v4, 1, v12
	v_lshlrev_b64 v[32:33], 2, v[4:5]
	v_lshlrev_b32_e32 v4, 1, v15
	v_add_co_u32_e32 v32, vcc, s8, v32
	v_addc_co_u32_e32 v33, vcc, v36, v33, vcc
	global_load_dwordx2 v[32:33], v[32:33], off offset:160
	v_lshlrev_b64 v[34:35], 2, v[4:5]
	s_mov_b32 s0, 0x6c16c16d
	v_add_co_u32_e32 v34, vcc, s8, v34
	v_addc_co_u32_e32 v35, vcc, v36, v35, vcc
	global_load_dwordx2 v[34:35], v[34:35], off offset:160
	ds_read_u16 v4, v9 offset:36
	ds_read_u16 v15, v9 offset:54
	;; [unrolled: 1-line block ×13, first 2 shown]
	global_load_dwordx2 v[7:8], v[7:8], off offset:160
	ds_read_u16 v9, v9 offset:18
	ds_read_u16 v1, v1
	v_add_co_u32_e32 v2, vcc, s2, v2
	s_waitcnt vmcnt(4)
	v_mul_f16_sdwa v47, v27, v28 dst_sel:DWORD dst_unused:UNUSED_PAD src0_sel:DWORD src1_sel:WORD_1
	v_mul_f16_sdwa v48, v26, v29 dst_sel:DWORD dst_unused:UNUSED_PAD src0_sel:DWORD src1_sel:WORD_1
	s_waitcnt lgkmcnt(6)
	v_mul_f16_sdwa v49, v42, v28 dst_sel:DWORD dst_unused:UNUSED_PAD src0_sel:DWORD src1_sel:WORD_1
	v_mul_f16_sdwa v50, v37, v29 dst_sel:DWORD dst_unused:UNUSED_PAD src0_sel:DWORD src1_sel:WORD_1
	v_fma_f16 v42, v42, v28, -v47
	v_fma_f16 v37, v37, v29, -v48
	v_fma_f16 v27, v27, v28, v49
	v_fma_f16 v26, v26, v29, v50
	s_waitcnt vmcnt(3)
	v_mul_f16_sdwa v28, v24, v30 dst_sel:DWORD dst_unused:UNUSED_PAD src0_sel:DWORD src1_sel:WORD_1
	v_mul_f16_sdwa v29, v25, v31 dst_sel:DWORD dst_unused:UNUSED_PAD src0_sel:DWORD src1_sel:WORD_1
	s_waitcnt lgkmcnt(5)
	v_mul_f16_sdwa v47, v43, v30 dst_sel:DWORD dst_unused:UNUSED_PAD src0_sel:DWORD src1_sel:WORD_1
	v_mul_f16_sdwa v48, v38, v31 dst_sel:DWORD dst_unused:UNUSED_PAD src0_sel:DWORD src1_sel:WORD_1
	v_sub_f16_e32 v50, v27, v26
	v_add_f16_e32 v52, v27, v26
	v_add_f16_e32 v27, v23, v27
	v_fma_f16 v28, v43, v30, -v28
	v_fma_f16 v29, v38, v31, -v29
	v_fma_f16 v24, v24, v30, v47
	v_fma_f16 v25, v25, v31, v48
	v_add_f16_e32 v26, v27, v26
	v_add_f16_e32 v27, v28, v29
	v_sub_f16_e32 v38, v24, v25
	v_add_f16_e32 v43, v15, v28
	v_add_f16_e32 v47, v24, v25
	;; [unrolled: 1-line block ×3, first 2 shown]
	v_fma_f16 v15, v27, -0.5, v15
	s_waitcnt vmcnt(2)
	v_mul_f16_sdwa v30, v20, v32 dst_sel:DWORD dst_unused:UNUSED_PAD src0_sel:DWORD src1_sel:WORD_1
	v_mul_f16_sdwa v31, v22, v33 dst_sel:DWORD dst_unused:UNUSED_PAD src0_sel:DWORD src1_sel:WORD_1
	v_sub_f16_e32 v28, v28, v29
	v_fma_f16 v21, v47, -0.5, v21
	v_add_f16_e32 v24, v24, v25
	v_fma_f16 v25, v38, s4, v15
	v_fma_f16 v15, v38, s5, v15
	s_waitcnt lgkmcnt(4)
	v_mul_f16_sdwa v38, v44, v32 dst_sel:DWORD dst_unused:UNUSED_PAD src0_sel:DWORD src1_sel:WORD_1
	v_fma_f16 v30, v44, v32, -v30
	v_add_f16_e32 v27, v43, v29
	v_fma_f16 v29, v28, s5, v21
	v_fma_f16 v21, v28, s4, v21
	v_fma_f16 v28, v39, v33, -v31
	v_fma_f16 v20, v20, v32, v38
	v_mul_f16_sdwa v32, v39, v33 dst_sel:DWORD dst_unused:UNUSED_PAD src0_sel:DWORD src1_sel:WORD_1
	v_add_f16_e32 v31, v30, v28
	v_fma_f16 v22, v22, v33, v32
	v_fma_f16 v31, v31, -0.5, v4
	v_sub_f16_e32 v32, v20, v22
	v_add_f16_e32 v4, v4, v30
	v_fma_f16 v33, v32, s4, v31
	v_fma_f16 v31, v32, s5, v31
	v_add_f16_e32 v32, v4, v28
	v_add_f16_e32 v4, v20, v22
	v_fma_f16 v4, v4, -0.5, v18
	v_sub_f16_e32 v28, v30, v28
	v_fma_f16 v30, v28, s5, v4
	v_fma_f16 v28, v28, s4, v4
	v_add_f16_e32 v4, v18, v20
	v_add_f16_e32 v18, v4, v22
	s_waitcnt vmcnt(1)
	v_mul_f16_sdwa v4, v17, v34 dst_sel:DWORD dst_unused:UNUSED_PAD src0_sel:DWORD src1_sel:WORD_1
	v_mul_f16_sdwa v20, v19, v35 dst_sel:DWORD dst_unused:UNUSED_PAD src0_sel:DWORD src1_sel:WORD_1
	s_waitcnt lgkmcnt(3)
	v_mul_f16_sdwa v38, v45, v34 dst_sel:DWORD dst_unused:UNUSED_PAD src0_sel:DWORD src1_sel:WORD_1
	v_fma_f16 v4, v45, v34, -v4
	v_fma_f16 v20, v40, v35, -v20
	v_fma_f16 v17, v17, v34, v38
	v_mul_f16_sdwa v34, v40, v35 dst_sel:DWORD dst_unused:UNUSED_PAD src0_sel:DWORD src1_sel:WORD_1
	v_add_f16_e32 v22, v4, v20
	v_fma_f16 v19, v19, v35, v34
	s_waitcnt lgkmcnt(1)
	v_fma_f16 v22, v22, -0.5, v9
	v_sub_f16_e32 v34, v17, v19
	v_fma_f16 v35, v34, s4, v22
	v_fma_f16 v22, v34, s5, v22
	v_add_f16_e32 v34, v17, v19
	v_fma_f16 v34, v34, -0.5, v11
	v_add_f16_e32 v11, v11, v17
	v_add_f16_e32 v11, v11, v19
	s_waitcnt vmcnt(0)
	v_mul_f16_sdwa v17, v10, v7 dst_sel:DWORD dst_unused:UNUSED_PAD src0_sel:DWORD src1_sel:WORD_1
	v_mul_f16_sdwa v19, v16, v8 dst_sel:DWORD dst_unused:UNUSED_PAD src0_sel:DWORD src1_sel:WORD_1
	;; [unrolled: 1-line block ×3, first 2 shown]
	v_add_f16_e32 v9, v9, v4
	v_sub_f16_e32 v4, v4, v20
	v_fma_f16 v17, v46, v7, -v17
	v_fma_f16 v19, v41, v8, -v19
	v_fma_f16 v7, v10, v7, v38
	v_mul_f16_sdwa v10, v41, v8 dst_sel:DWORD dst_unused:UNUSED_PAD src0_sel:DWORD src1_sel:WORD_1
	v_add_f16_e32 v9, v9, v20
	v_fma_f16 v20, v4, s5, v34
	v_fma_f16 v4, v4, s4, v34
	v_add_f16_e32 v34, v17, v19
	v_fma_f16 v8, v16, v8, v10
	s_waitcnt lgkmcnt(0)
	v_fma_f16 v34, v34, -0.5, v1
	v_sub_f16_e32 v10, v7, v8
	v_add_f16_e32 v1, v1, v17
	v_fma_f16 v16, v10, s4, v34
	v_fma_f16 v10, v10, s5, v34
	v_add_f16_e32 v34, v1, v19
	v_add_f16_e32 v1, v7, v8
	v_fma_f16 v1, v1, -0.5, v6
	v_sub_f16_e32 v17, v17, v19
	v_fma_f16 v19, v17, s5, v1
	v_fma_f16 v17, v17, s4, v1
	v_add_f16_e32 v1, v6, v7
	v_add_f16_e32 v6, v1, v8
	v_mov_b32_e32 v1, v5
	v_mov_b32_e32 v7, s3
	v_lshlrev_b64 v[0:1], 2, v[0:1]
	v_addc_co_u32_e32 v3, vcc, v7, v3, vcc
	v_add_co_u32_e32 v0, vcc, v2, v0
	v_addc_co_u32_e32 v1, vcc, v3, v1, vcc
	v_pack_b32_f16 v2, v6, v34
	global_store_dword v[0:1], v2, off
	v_pack_b32_f16 v2, v17, v10
	global_store_dword v[0:1], v2, off offset:180
	v_pack_b32_f16 v2, v19, v16
	v_mul_hi_u32 v3, v12, s0
	global_store_dword v[0:1], v2, off offset:360
	v_pack_b32_f16 v2, v11, v9
	global_store_dword v[0:1], v2, off offset:36
	v_pack_b32_f16 v2, v4, v22
	;; [unrolled: 2-line block ×3, first 2 shown]
	global_store_dword v[0:1], v2, off offset:396
	v_sub_u32_e32 v2, v12, v3
	v_lshrrev_b32_e32 v2, 1, v2
	v_add_u32_e32 v2, v2, v3
	v_lshrrev_b32_e32 v2, 5, v2
	v_mul_u32_u24_e32 v4, 0x5a, v2
	v_lshlrev_b64 v[2:3], 2, v[4:5]
	v_mul_hi_u32 v6, v13, s0
	v_add_co_u32_e32 v2, vcc, v0, v2
	v_addc_co_u32_e32 v3, vcc, v1, v3, vcc
	v_pack_b32_f16 v4, v18, v32
	global_store_dword v[2:3], v4, off offset:72
	v_pack_b32_f16 v4, v28, v31
	global_store_dword v[2:3], v4, off offset:252
	;; [unrolled: 2-line block ×3, first 2 shown]
	v_sub_u32_e32 v2, v13, v6
	v_lshrrev_b32_e32 v2, 1, v2
	v_add_u32_e32 v2, v2, v6
	v_lshrrev_b32_e32 v2, 5, v2
	v_mul_u32_u24_e32 v4, 0x5a, v2
	v_lshlrev_b64 v[2:3], 2, v[4:5]
	v_mul_hi_u32 v6, v14, s0
	v_add_co_u32_e32 v2, vcc, v0, v2
	v_addc_co_u32_e32 v3, vcc, v1, v3, vcc
	v_pack_b32_f16 v4, v24, v27
	global_store_dword v[2:3], v4, off offset:108
	v_pack_b32_f16 v4, v21, v15
	global_store_dword v[2:3], v4, off offset:288
	;; [unrolled: 2-line block ×3, first 2 shown]
	v_sub_u32_e32 v2, v14, v6
	v_lshrrev_b32_e32 v2, 1, v2
	v_add_u32_e32 v2, v2, v6
	v_lshrrev_b32_e32 v2, 5, v2
	v_mul_u32_u24_e32 v4, 0x5a, v2
	v_lshlrev_b64 v[2:3], 2, v[4:5]
	v_add_f16_e32 v49, v42, v37
	v_add_f16_e32 v51, v36, v42
	v_sub_f16_e32 v42, v42, v37
	v_fma_f16 v36, v49, -0.5, v36
	v_add_f16_e32 v37, v51, v37
	v_fma_f16 v23, v52, -0.5, v23
	v_add_co_u32_e32 v0, vcc, v0, v2
	v_fma_f16 v48, v50, s4, v36
	v_fma_f16 v36, v50, s5, v36
	;; [unrolled: 1-line block ×4, first 2 shown]
	v_addc_co_u32_e32 v1, vcc, v1, v3, vcc
	v_pack_b32_f16 v2, v26, v37
	global_store_dword v[0:1], v2, off offset:144
	v_pack_b32_f16 v2, v23, v36
	global_store_dword v[0:1], v2, off offset:324
	;; [unrolled: 2-line block ×3, first 2 shown]
.LBB0_12:
	s_endpgm
	.section	.rodata,"a",@progbits
	.p2align	6, 0x0
	.amdhsa_kernel fft_rtc_back_len135_factors_5_3_3_3_wgs_126_tpt_9_halfLds_half_ip_CI_unitstride_sbrr_dirReg
		.amdhsa_group_segment_fixed_size 0
		.amdhsa_private_segment_fixed_size 0
		.amdhsa_kernarg_size 88
		.amdhsa_user_sgpr_count 6
		.amdhsa_user_sgpr_private_segment_buffer 1
		.amdhsa_user_sgpr_dispatch_ptr 0
		.amdhsa_user_sgpr_queue_ptr 0
		.amdhsa_user_sgpr_kernarg_segment_ptr 1
		.amdhsa_user_sgpr_dispatch_id 0
		.amdhsa_user_sgpr_flat_scratch_init 0
		.amdhsa_user_sgpr_private_segment_size 0
		.amdhsa_uses_dynamic_stack 0
		.amdhsa_system_sgpr_private_segment_wavefront_offset 0
		.amdhsa_system_sgpr_workgroup_id_x 1
		.amdhsa_system_sgpr_workgroup_id_y 0
		.amdhsa_system_sgpr_workgroup_id_z 0
		.amdhsa_system_sgpr_workgroup_info 0
		.amdhsa_system_vgpr_workitem_id 0
		.amdhsa_next_free_vgpr 65
		.amdhsa_next_free_sgpr 22
		.amdhsa_reserve_vcc 1
		.amdhsa_reserve_flat_scratch 0
		.amdhsa_float_round_mode_32 0
		.amdhsa_float_round_mode_16_64 0
		.amdhsa_float_denorm_mode_32 3
		.amdhsa_float_denorm_mode_16_64 3
		.amdhsa_dx10_clamp 1
		.amdhsa_ieee_mode 1
		.amdhsa_fp16_overflow 0
		.amdhsa_exception_fp_ieee_invalid_op 0
		.amdhsa_exception_fp_denorm_src 0
		.amdhsa_exception_fp_ieee_div_zero 0
		.amdhsa_exception_fp_ieee_overflow 0
		.amdhsa_exception_fp_ieee_underflow 0
		.amdhsa_exception_fp_ieee_inexact 0
		.amdhsa_exception_int_div_zero 0
	.end_amdhsa_kernel
	.text
.Lfunc_end0:
	.size	fft_rtc_back_len135_factors_5_3_3_3_wgs_126_tpt_9_halfLds_half_ip_CI_unitstride_sbrr_dirReg, .Lfunc_end0-fft_rtc_back_len135_factors_5_3_3_3_wgs_126_tpt_9_halfLds_half_ip_CI_unitstride_sbrr_dirReg
                                        ; -- End function
	.section	.AMDGPU.csdata,"",@progbits
; Kernel info:
; codeLenInByte = 7496
; NumSgprs: 26
; NumVgprs: 65
; ScratchSize: 0
; MemoryBound: 0
; FloatMode: 240
; IeeeMode: 1
; LDSByteSize: 0 bytes/workgroup (compile time only)
; SGPRBlocks: 3
; VGPRBlocks: 16
; NumSGPRsForWavesPerEU: 26
; NumVGPRsForWavesPerEU: 65
; Occupancy: 3
; WaveLimiterHint : 1
; COMPUTE_PGM_RSRC2:SCRATCH_EN: 0
; COMPUTE_PGM_RSRC2:USER_SGPR: 6
; COMPUTE_PGM_RSRC2:TRAP_HANDLER: 0
; COMPUTE_PGM_RSRC2:TGID_X_EN: 1
; COMPUTE_PGM_RSRC2:TGID_Y_EN: 0
; COMPUTE_PGM_RSRC2:TGID_Z_EN: 0
; COMPUTE_PGM_RSRC2:TIDIG_COMP_CNT: 0
	.type	__hip_cuid_aacd88914b5140ca,@object ; @__hip_cuid_aacd88914b5140ca
	.section	.bss,"aw",@nobits
	.globl	__hip_cuid_aacd88914b5140ca
__hip_cuid_aacd88914b5140ca:
	.byte	0                               ; 0x0
	.size	__hip_cuid_aacd88914b5140ca, 1

	.ident	"AMD clang version 19.0.0git (https://github.com/RadeonOpenCompute/llvm-project roc-6.4.0 25133 c7fe45cf4b819c5991fe208aaa96edf142730f1d)"
	.section	".note.GNU-stack","",@progbits
	.addrsig
	.addrsig_sym __hip_cuid_aacd88914b5140ca
	.amdgpu_metadata
---
amdhsa.kernels:
  - .args:
      - .actual_access:  read_only
        .address_space:  global
        .offset:         0
        .size:           8
        .value_kind:     global_buffer
      - .offset:         8
        .size:           8
        .value_kind:     by_value
      - .actual_access:  read_only
        .address_space:  global
        .offset:         16
        .size:           8
        .value_kind:     global_buffer
      - .actual_access:  read_only
        .address_space:  global
        .offset:         24
        .size:           8
        .value_kind:     global_buffer
      - .offset:         32
        .size:           8
        .value_kind:     by_value
      - .actual_access:  read_only
        .address_space:  global
        .offset:         40
        .size:           8
        .value_kind:     global_buffer
      - .actual_access:  read_only
        .address_space:  global
        .offset:         48
        .size:           8
        .value_kind:     global_buffer
      - .offset:         56
        .size:           4
        .value_kind:     by_value
      - .actual_access:  read_only
        .address_space:  global
        .offset:         64
        .size:           8
        .value_kind:     global_buffer
      - .actual_access:  read_only
        .address_space:  global
        .offset:         72
        .size:           8
        .value_kind:     global_buffer
      - .address_space:  global
        .offset:         80
        .size:           8
        .value_kind:     global_buffer
    .group_segment_fixed_size: 0
    .kernarg_segment_align: 8
    .kernarg_segment_size: 88
    .language:       OpenCL C
    .language_version:
      - 2
      - 0
    .max_flat_workgroup_size: 126
    .name:           fft_rtc_back_len135_factors_5_3_3_3_wgs_126_tpt_9_halfLds_half_ip_CI_unitstride_sbrr_dirReg
    .private_segment_fixed_size: 0
    .sgpr_count:     26
    .sgpr_spill_count: 0
    .symbol:         fft_rtc_back_len135_factors_5_3_3_3_wgs_126_tpt_9_halfLds_half_ip_CI_unitstride_sbrr_dirReg.kd
    .uniform_work_group_size: 1
    .uses_dynamic_stack: false
    .vgpr_count:     65
    .vgpr_spill_count: 0
    .wavefront_size: 64
amdhsa.target:   amdgcn-amd-amdhsa--gfx906
amdhsa.version:
  - 1
  - 2
...

	.end_amdgpu_metadata
